;; amdgpu-corpus repo=ROCm/rocFFT kind=compiled arch=gfx950 opt=O3
	.text
	.amdgcn_target "amdgcn-amd-amdhsa--gfx950"
	.amdhsa_code_object_version 6
	.protected	fft_rtc_fwd_len272_factors_16_17_wgs_119_tpt_17_halfLds_half_ip_CI_sbrr_dirReg ; -- Begin function fft_rtc_fwd_len272_factors_16_17_wgs_119_tpt_17_halfLds_half_ip_CI_sbrr_dirReg
	.globl	fft_rtc_fwd_len272_factors_16_17_wgs_119_tpt_17_halfLds_half_ip_CI_sbrr_dirReg
	.p2align	8
	.type	fft_rtc_fwd_len272_factors_16_17_wgs_119_tpt_17_halfLds_half_ip_CI_sbrr_dirReg,@function
fft_rtc_fwd_len272_factors_16_17_wgs_119_tpt_17_halfLds_half_ip_CI_sbrr_dirReg: ; @fft_rtc_fwd_len272_factors_16_17_wgs_119_tpt_17_halfLds_half_ip_CI_sbrr_dirReg
; %bb.0:
	s_load_dwordx2 s[12:13], s[0:1], 0x18
	s_load_dwordx4 s[4:7], s[0:1], 0x0
	s_load_dwordx2 s[10:11], s[0:1], 0x50
	v_mul_u32_u24_e32 v1, 0xf10, v0
	v_lshrrev_b32_e32 v2, 16, v1
	s_waitcnt lgkmcnt(0)
	s_load_dwordx2 s[8:9], s[12:13], 0x0
	v_mad_u64_u32 v[2:3], s[2:3], s2, 7, v[2:3]
	v_mov_b32_e32 v6, 0
	v_mov_b32_e32 v3, v6
	v_cmp_lt_u64_e64 s[2:3], s[6:7], 2
	s_and_b64 vcc, exec, s[2:3]
	v_mov_b64_e32 v[4:5], 0
	v_mov_b64_e32 v[10:11], v[2:3]
	s_cbranch_vccnz .LBB0_8
; %bb.1:
	s_load_dwordx2 s[2:3], s[0:1], 0x10
	s_add_u32 s14, s12, 8
	s_addc_u32 s15, s13, 0
	s_mov_b64 s[16:17], 1
	v_mov_b64_e32 v[4:5], 0
	s_waitcnt lgkmcnt(0)
	s_add_u32 s18, s2, 8
	s_addc_u32 s19, s3, 0
	v_mov_b64_e32 v[8:9], v[2:3]
.LBB0_2:                                ; =>This Inner Loop Header: Depth=1
	s_load_dwordx2 s[20:21], s[18:19], 0x0
                                        ; implicit-def: $vgpr10_vgpr11
	s_waitcnt lgkmcnt(0)
	v_or_b32_e32 v7, s21, v9
	v_cmp_ne_u64_e32 vcc, 0, v[6:7]
	s_and_saveexec_b64 s[2:3], vcc
	s_xor_b64 s[22:23], exec, s[2:3]
	s_cbranch_execz .LBB0_4
; %bb.3:                                ;   in Loop: Header=BB0_2 Depth=1
	v_cvt_f32_u32_e32 v1, s20
	v_cvt_f32_u32_e32 v3, s21
	s_sub_u32 s2, 0, s20
	s_subb_u32 s3, 0, s21
	v_fmac_f32_e32 v1, 0x4f800000, v3
	v_rcp_f32_e32 v1, v1
	s_nop 0
	v_mul_f32_e32 v1, 0x5f7ffffc, v1
	v_mul_f32_e32 v3, 0x2f800000, v1
	v_trunc_f32_e32 v3, v3
	v_fmac_f32_e32 v1, 0xcf800000, v3
	v_cvt_u32_f32_e32 v3, v3
	v_cvt_u32_f32_e32 v1, v1
	v_mul_lo_u32 v7, s2, v3
	v_mul_hi_u32 v10, s2, v1
	v_mul_lo_u32 v11, s3, v1
	v_add_u32_e32 v7, v10, v7
	v_mul_lo_u32 v14, s2, v1
	v_add_u32_e32 v7, v7, v11
	v_mul_hi_u32 v10, v1, v14
	v_mul_hi_u32 v13, v1, v7
	v_mul_lo_u32 v12, v1, v7
	v_mov_b32_e32 v11, v6
	v_lshl_add_u64 v[10:11], v[10:11], 0, v[12:13]
	v_mul_hi_u32 v13, v3, v14
	v_mul_lo_u32 v14, v3, v14
	v_add_co_u32_e32 v10, vcc, v10, v14
	v_mul_hi_u32 v12, v3, v7
	s_nop 0
	v_addc_co_u32_e32 v10, vcc, v11, v13, vcc
	v_mov_b32_e32 v11, v6
	s_nop 0
	v_addc_co_u32_e32 v13, vcc, 0, v12, vcc
	v_mul_lo_u32 v12, v3, v7
	v_lshl_add_u64 v[10:11], v[10:11], 0, v[12:13]
	v_add_co_u32_e32 v1, vcc, v1, v10
	v_mul_hi_u32 v10, s2, v1
	s_nop 0
	v_addc_co_u32_e32 v3, vcc, v3, v11, vcc
	v_mul_lo_u32 v7, s2, v3
	v_add_u32_e32 v7, v10, v7
	v_mul_lo_u32 v10, s3, v1
	v_add_u32_e32 v7, v7, v10
	v_mul_lo_u32 v12, s2, v1
	v_mul_hi_u32 v15, v3, v12
	v_mul_lo_u32 v16, v3, v12
	v_mul_hi_u32 v11, v1, v7
	;; [unrolled: 2-line block ×3, first 2 shown]
	v_mov_b32_e32 v13, v6
	v_lshl_add_u64 v[10:11], v[12:13], 0, v[10:11]
	v_add_co_u32_e32 v10, vcc, v10, v16
	v_mul_hi_u32 v14, v3, v7
	s_nop 0
	v_addc_co_u32_e32 v10, vcc, v11, v15, vcc
	v_mul_lo_u32 v12, v3, v7
	s_nop 0
	v_addc_co_u32_e32 v13, vcc, 0, v14, vcc
	v_mov_b32_e32 v11, v6
	v_lshl_add_u64 v[10:11], v[10:11], 0, v[12:13]
	v_add_co_u32_e32 v1, vcc, v1, v10
	v_mul_hi_u32 v12, v8, v1
	s_nop 0
	v_addc_co_u32_e32 v3, vcc, v3, v11, vcc
	v_mad_u64_u32 v[10:11], s[2:3], v8, v3, 0
	v_mov_b32_e32 v13, v6
	v_lshl_add_u64 v[10:11], v[12:13], 0, v[10:11]
	v_mad_u64_u32 v[14:15], s[2:3], v9, v1, 0
	v_add_co_u32_e32 v1, vcc, v10, v14
	v_mad_u64_u32 v[12:13], s[2:3], v9, v3, 0
	s_nop 0
	v_addc_co_u32_e32 v10, vcc, v11, v15, vcc
	v_mov_b32_e32 v11, v6
	s_nop 0
	v_addc_co_u32_e32 v13, vcc, 0, v13, vcc
	v_lshl_add_u64 v[10:11], v[10:11], 0, v[12:13]
	v_mul_lo_u32 v1, s21, v10
	v_mul_lo_u32 v3, s20, v11
	v_mad_u64_u32 v[12:13], s[2:3], s20, v10, 0
	v_add3_u32 v1, v13, v3, v1
	v_sub_u32_e32 v3, v9, v1
	v_mov_b32_e32 v7, s21
	v_sub_co_u32_e32 v16, vcc, v8, v12
	v_lshl_add_u64 v[14:15], v[10:11], 0, 1
	s_nop 0
	v_subb_co_u32_e64 v3, s[2:3], v3, v7, vcc
	v_subrev_co_u32_e64 v7, s[2:3], s20, v16
	v_subb_co_u32_e32 v1, vcc, v9, v1, vcc
	s_nop 0
	v_subbrev_co_u32_e64 v3, s[2:3], 0, v3, s[2:3]
	v_cmp_le_u32_e64 s[2:3], s21, v3
	v_cmp_le_u32_e32 vcc, s21, v1
	s_nop 0
	v_cndmask_b32_e64 v12, 0, -1, s[2:3]
	v_cmp_le_u32_e64 s[2:3], s20, v7
	s_nop 1
	v_cndmask_b32_e64 v7, 0, -1, s[2:3]
	v_cmp_eq_u32_e64 s[2:3], s21, v3
	s_nop 1
	v_cndmask_b32_e64 v3, v12, v7, s[2:3]
	v_lshl_add_u64 v[12:13], v[10:11], 0, 2
	v_cmp_ne_u32_e64 s[2:3], 0, v3
	v_cndmask_b32_e64 v7, 0, -1, vcc
	v_cmp_le_u32_e32 vcc, s20, v16
	v_cndmask_b32_e64 v3, v15, v13, s[2:3]
	s_nop 0
	v_cndmask_b32_e64 v13, 0, -1, vcc
	v_cmp_eq_u32_e32 vcc, s21, v1
	s_nop 1
	v_cndmask_b32_e32 v1, v7, v13, vcc
	v_cmp_ne_u32_e32 vcc, 0, v1
	v_cndmask_b32_e64 v1, v14, v12, s[2:3]
	s_nop 0
	v_cndmask_b32_e32 v11, v11, v3, vcc
	v_cndmask_b32_e32 v10, v10, v1, vcc
.LBB0_4:                                ;   in Loop: Header=BB0_2 Depth=1
	s_andn2_saveexec_b64 s[2:3], s[22:23]
	s_cbranch_execz .LBB0_6
; %bb.5:                                ;   in Loop: Header=BB0_2 Depth=1
	v_cvt_f32_u32_e32 v1, s20
	s_sub_i32 s22, 0, s20
	v_mov_b32_e32 v11, v6
	v_rcp_iflag_f32_e32 v1, v1
	s_nop 0
	v_mul_f32_e32 v1, 0x4f7ffffe, v1
	v_cvt_u32_f32_e32 v1, v1
	v_mul_lo_u32 v3, s22, v1
	v_mul_hi_u32 v3, v1, v3
	v_add_u32_e32 v1, v1, v3
	v_mul_hi_u32 v1, v8, v1
	v_mul_lo_u32 v3, v1, s20
	v_sub_u32_e32 v3, v8, v3
	v_add_u32_e32 v7, 1, v1
	v_subrev_u32_e32 v10, s20, v3
	v_cmp_le_u32_e32 vcc, s20, v3
	s_nop 1
	v_cndmask_b32_e32 v3, v3, v10, vcc
	v_cndmask_b32_e32 v1, v1, v7, vcc
	v_add_u32_e32 v7, 1, v1
	v_cmp_le_u32_e32 vcc, s20, v3
	s_nop 1
	v_cndmask_b32_e32 v10, v1, v7, vcc
.LBB0_6:                                ;   in Loop: Header=BB0_2 Depth=1
	s_or_b64 exec, exec, s[2:3]
	v_mad_u64_u32 v[12:13], s[2:3], v10, s20, 0
	s_load_dwordx2 s[2:3], s[14:15], 0x0
	s_add_u32 s16, s16, 1
	v_mul_lo_u32 v1, v11, s20
	v_mul_lo_u32 v3, v10, s21
	s_addc_u32 s17, s17, 0
	v_add3_u32 v1, v13, v3, v1
	v_sub_co_u32_e32 v3, vcc, v8, v12
	s_add_u32 s14, s14, 8
	s_nop 0
	v_subb_co_u32_e32 v1, vcc, v9, v1, vcc
	s_addc_u32 s15, s15, 0
	v_mov_b64_e32 v[8:9], s[6:7]
	s_waitcnt lgkmcnt(0)
	v_mul_lo_u32 v1, s2, v1
	v_mul_lo_u32 v7, s3, v3
	v_mad_u64_u32 v[4:5], s[2:3], s2, v3, v[4:5]
	s_add_u32 s18, s18, 8
	v_cmp_ge_u64_e32 vcc, s[16:17], v[8:9]
	v_add3_u32 v5, v7, v5, v1
	s_addc_u32 s19, s19, 0
	s_cbranch_vccnz .LBB0_8
; %bb.7:                                ;   in Loop: Header=BB0_2 Depth=1
	v_mov_b64_e32 v[8:9], v[10:11]
	s_branch .LBB0_2
.LBB0_8:
	s_lshl_b64 s[2:3], s[6:7], 3
	s_add_u32 s2, s12, s2
	s_addc_u32 s3, s13, s3
	s_load_dwordx2 s[6:7], s[2:3], 0x0
	s_load_dwordx2 s[12:13], s[0:1], 0x20
	v_mov_b32_e32 v9, 0
	v_mov_b32_e32 v14, 0
	;; [unrolled: 1-line block ×3, first 2 shown]
	s_waitcnt lgkmcnt(0)
	v_mad_u64_u32 v[6:7], s[0:1], s6, v10, v[4:5]
	v_mul_lo_u32 v1, s6, v11
	v_mul_lo_u32 v3, s7, v10
	s_mov_b32 s0, 0xf0f0f10
	v_add3_u32 v7, v3, v7, v1
	v_mul_hi_u32 v1, v0, s0
	v_mul_u32_u24_e32 v1, 17, v1
	v_cmp_gt_u64_e32 vcc, s[12:13], v[10:11]
	v_sub_u32_e32 v3, v0, v1
	v_mov_b32_e32 v4, 0
	v_lshl_add_u64 v[0:1], v[6:7], 2, s[10:11]
	v_mov_b32_e32 v5, 0
	v_mov_b32_e32 v11, 0
	;; [unrolled: 1-line block ×4, first 2 shown]
                                        ; implicit-def: $vgpr7
                                        ; implicit-def: $vgpr19
                                        ; implicit-def: $vgpr20
                                        ; implicit-def: $vgpr8
                                        ; implicit-def: $vgpr12
                                        ; implicit-def: $vgpr10
                                        ; implicit-def: $vgpr13
                                        ; implicit-def: $vgpr16
                                        ; implicit-def: $vgpr18
	s_and_saveexec_b64 s[0:1], vcc
	s_cbranch_execz .LBB0_10
; %bb.9:
	v_mad_u64_u32 v[4:5], s[2:3], s8, v3, 0
	v_mov_b32_e32 v6, v5
	v_mad_u64_u32 v[6:7], s[2:3], s9, v3, v[6:7]
	v_mov_b32_e32 v5, v6
	v_add_u32_e32 v7, 17, v3
	v_lshl_add_u64 v[12:13], v[4:5], 2, v[0:1]
	v_mad_u64_u32 v[4:5], s[2:3], s8, v7, 0
	v_mov_b32_e32 v6, v5
	v_mad_u64_u32 v[6:7], s[2:3], s9, v7, v[6:7]
	v_mov_b32_e32 v5, v6
	v_add_u32_e32 v7, 34, v3
	v_lshl_add_u64 v[16:17], v[4:5], 2, v[0:1]
	;; [unrolled: 6-line block ×15, first 2 shown]
	v_mad_u64_u32 v[4:5], s[2:3], s8, v7, 0
	v_mov_b32_e32 v6, v5
	v_mad_u64_u32 v[6:7], s[2:3], s9, v7, v[6:7]
	v_mov_b32_e32 v5, v6
	v_lshl_add_u64 v[44:45], v[4:5], 2, v[0:1]
	global_load_dword v8, v[30:31], off
	global_load_dword v10, v[32:33], off
	;; [unrolled: 1-line block ×15, first 2 shown]
                                        ; kill: killed $vgpr20_vgpr21
                                        ; kill: killed $vgpr42_vgpr43
                                        ; kill: killed $vgpr44_vgpr45
                                        ; kill: killed $vgpr26_vgpr27
                                        ; kill: killed $vgpr18_vgpr19
                                        ; kill: killed $vgpr34_vgpr35
                                        ; kill: killed $vgpr24_vgpr25
                                        ; kill: killed $vgpr16_vgpr17
                                        ; kill: killed $vgpr36_vgpr37
                                        ; kill: killed $vgpr22_vgpr23
                                        ; kill: killed $vgpr38_vgpr39
                                        ; kill: killed $vgpr12_vgpr13
                                        ; kill: killed $vgpr30_vgpr31
                                        ; kill: killed $vgpr32_vgpr33
                                        ; kill: killed $vgpr40_vgpr41
	global_load_dword v17, v[28:29], off
	s_mov_b32 s2, 0x5040100
	s_waitcnt vmcnt(15)
	v_lshrrev_b32_e32 v7, 16, v8
	s_waitcnt vmcnt(14)
	v_lshrrev_b32_e32 v19, 16, v10
	v_perm_b32 v20, v10, v8, s2
	s_waitcnt vmcnt(12)
	v_perm_b32 v12, v47, v46, s2
	s_waitcnt vmcnt(10)
	;; [unrolled: 2-line block ×3, first 2 shown]
	v_perm_b32 v10, v51, v50, s2
	s_mov_b32 s2, 0x7060302
	v_perm_b32 v13, v49, v48, s2
	v_perm_b32 v16, v51, v50, s2
	;; [unrolled: 1-line block ×3, first 2 shown]
.LBB0_10:
	s_or_b64 exec, exec, s[0:1]
	s_mov_b32 s0, 0x24924925
	v_mul_hi_u32 v21, v2, s0
	v_sub_u32_e32 v22, v2, v21
	v_lshrrev_b32_e32 v22, 1, v22
	v_add_u32_e32 v21, v22, v21
	v_lshrrev_b32_e32 v21, 2, v21
	s_mov_b32 s0, 0x5040100
	v_mul_lo_u32 v21, v21, 7
	s_waitcnt vmcnt(4)
	v_perm_b32 v22, v14, v9, s0
	v_sub_u32_e32 v2, v2, v21
	v_pk_add_f16 v23, v22, v12 neg_lo:[0,1] neg_hi:[0,1]
	v_mul_u32_u24_e32 v31, 0x110, v2
	v_sub_f16_sdwa v2, v5, v19 dst_sel:DWORD dst_unused:UNUSED_PAD src0_sel:WORD_1 src1_sel:DWORD
	v_perm_b32 v19, v5, v4, s0
	s_waitcnt vmcnt(2)
	v_perm_b32 v21, v6, v11, s0
	v_pk_fma_f16 v12, v22, 2.0, v23 op_sel_hi:[1,0,1] neg_lo:[0,0,1] neg_hi:[0,0,1]
	s_waitcnt vmcnt(0)
	v_perm_b32 v22, v17, v15, s0
	s_mov_b32 s0, 0x7060302
	v_pk_add_f16 v8, v21, v8 neg_lo:[0,1] neg_hi:[0,1]
	v_pk_add_f16 v24, v22, v10 neg_lo:[0,1] neg_hi:[0,1]
	v_perm_b32 v11, v6, v11, s0
	v_lshrrev_b32_e32 v25, 16, v9
	v_perm_b32 v9, v14, v9, s0
	v_pk_fma_f16 v10, v22, 2.0, v24 op_sel_hi:[1,0,1] neg_lo:[0,0,1] neg_hi:[0,0,1]
	v_add_f16_sdwa v22, v2, v8 dst_sel:DWORD dst_unused:UNUSED_PAD src0_sel:DWORD src1_sel:WORD_1
	v_pk_add_f16 v13, v11, v13 neg_lo:[0,1] neg_hi:[0,1]
	v_pk_add_f16 v9, v9, v18 neg_lo:[0,1] neg_hi:[0,1]
	v_lshrrev_b32_e32 v18, 16, v15
	v_perm_b32 v15, v17, v15, s0
	v_perm_b32 v5, v6, v5, s0
	s_mov_b32 s0, 0xffff
	v_fma_f16 v27, v2, 2.0, -v22
	v_pk_add_f16 v16, v15, v16 neg_lo:[0,1] neg_hi:[0,1]
	v_bfi_b32 v2, s0, v2, v13
	v_lshrrev_b32_e32 v26, 16, v14
	v_fma_f16 v14, v25, 2.0, -v9
	v_lshrrev_b32_e32 v25, 16, v17
	v_pk_fma_f16 v2, v5, 2.0, v2 op_sel_hi:[1,0,1] neg_lo:[0,0,1] neg_hi:[0,0,1]
	v_lshrrev_b32_e32 v5, 16, v9
	v_lshrrev_b32_e32 v6, 16, v16
	v_fma_f16 v15, v18, 2.0, -v16
	v_fma_f16 v5, v26, 2.0, -v5
	;; [unrolled: 1-line block ×3, first 2 shown]
	v_sub_f16_sdwa v17, v2, v2 dst_sel:DWORD dst_unused:UNUSED_PAD src0_sel:DWORD src1_sel:WORD_1
	v_sub_f16_e32 v26, v14, v15
	v_fma_f16 v15, v2, 2.0, -v17
	v_sub_f16_e32 v2, v5, v6
	v_pk_add_f16 v20, v19, v20 neg_lo:[0,1] neg_hi:[0,1]
	v_fma_f16 v5, v5, 2.0, -v2
	v_sub_f16_e32 v25, v15, v5
	v_pk_add_f16 v5, v20, v13 neg_lo:[0,1] neg_hi:[0,1]
	v_pk_add_f16 v16, v23, v16 neg_lo:[0,1] neg_hi:[0,1]
	v_pk_fma_f16 v19, v19, 2.0, v20 op_sel_hi:[1,0,1] neg_lo:[0,0,1] neg_hi:[0,0,1]
	v_pk_fma_f16 v6, v20, 2.0, v5 op_sel_hi:[1,0,1] neg_lo:[0,0,1] neg_hi:[0,0,1]
	v_pk_add_f16 v18, v9, v24
	v_pk_fma_f16 v20, v23, 2.0, v16 op_sel_hi:[1,0,1] neg_lo:[0,0,1] neg_hi:[0,0,1]
	s_movk_i32 s0, 0x39a8
	v_pk_fma_f16 v21, v21, 2.0, v8 op_sel_hi:[1,0,1] neg_lo:[0,0,1] neg_hi:[0,0,1]
	v_pk_fma_f16 v9, v9, 2.0, v18 op_sel_hi:[1,0,1] neg_lo:[0,0,1] neg_hi:[0,0,1]
	v_pk_mul_f16 v33, v20, s0 op_sel_hi:[1,0]
	v_pk_fma_f16 v20, v20, s0, v6 op_sel_hi:[1,0,1] neg_lo:[1,0,0] neg_hi:[1,0,0]
	v_pk_add_f16 v21, v19, v21 neg_lo:[0,1] neg_hi:[0,1]
	v_pk_fma_f16 v36, v9, s0, v20 op_sel_hi:[1,0,1] neg_lo:[1,0,0] neg_hi:[1,0,0]
	v_pk_mul_f16 v28, v9, s0 op_sel_hi:[1,0]
	v_pk_fma_f16 v9, v6, 2.0, v36 op_sel_hi:[1,0,1] neg_lo:[0,0,1] neg_hi:[0,0,1]
	v_lshrrev_b32_e32 v6, 16, v21
	v_sub_f16_sdwa v24, v27, v28 dst_sel:DWORD dst_unused:UNUSED_PAD src0_sel:DWORD src1_sel:WORD_1
	v_sub_f16_e32 v37, v6, v2
	v_pk_mul_f16 v39, v18, s0 op_sel_hi:[1,0]
	v_add_f16_sdwa v32, v33, v24 dst_sel:DWORD dst_unused:UNUSED_PAD src0_sel:WORD_1 src1_sel:DWORD
	v_fma_f16 v20, v6, 2.0, -v37
	v_pk_mul_f16 v40, v16, s0 op_sel_hi:[1,0]
	v_add_f16_sdwa v6, v22, v39 dst_sel:DWORD dst_unused:UNUSED_PAD src0_sel:DWORD src1_sel:WORD_1
	v_lshrrev_b32_e32 v41, 16, v9
	s_mov_b32 s7, 0xbb64
	v_pk_add_f16 v10, v12, v10 neg_lo:[0,1] neg_hi:[0,1]
	v_sub_f16_e32 v29, v21, v26
	v_fma_f16 v27, v27, 2.0, -v32
	v_add_f16_sdwa v34, v40, v6 dst_sel:DWORD dst_unused:UNUSED_PAD src0_sel:WORD_1 src1_sel:DWORD
	v_fma_f16 v6, v41, s7, v9
	s_mov_b32 s6, 0xb61f
	v_pk_fma_f16 v19, v19, 2.0, v21 op_sel_hi:[1,0,1] neg_lo:[0,0,1] neg_hi:[0,0,1]
	v_pk_fma_f16 v12, v12, 2.0, v10 op_sel_hi:[1,0,1] neg_lo:[0,0,1] neg_hi:[0,0,1]
	v_fma_f16 v23, v21, 2.0, -v29
	v_add_f16_sdwa v38, v17, v10 dst_sel:DWORD dst_unused:UNUSED_PAD src0_sel:DWORD src1_sel:WORD_1
	v_pk_fma_f16 v2, v16, s0, v5 op_sel_hi:[1,0,1]
	v_fma_f16 v6, v27, s6, v6
	s_mov_b32 s1, 0xb9a8
	v_pk_add_f16 v12, v19, v12 neg_lo:[0,1] neg_hi:[0,1]
	v_fma_f16 v17, v17, 2.0, -v38
	v_pk_fma_f16 v18, v18, s0, v2 op_sel_hi:[1,0,1] neg_lo:[1,0,0] neg_hi:[1,0,0]
	v_fma_f16 v16, v9, 2.0, -v6
	v_fma_f16 v9, v20, s1, v23
	v_lshrrev_b32_e32 v46, 16, v36
	s_movk_i32 s10, 0x361f
	v_pk_fma_f16 v19, v19, 2.0, v12 op_sel_hi:[1,0,1] neg_lo:[0,0,1] neg_hi:[0,0,1]
	v_pk_fma_f16 v21, v5, 2.0, v18 op_sel_hi:[1,0,1] neg_lo:[0,0,1] neg_hi:[0,0,1]
	v_fma_f16 v35, v22, 2.0, -v34
	v_fma_f16 v9, v17, s1, v9
	v_fma_f16 v22, v46, s10, v36
	v_sub_f16_sdwa v5, v19, v19 dst_sel:DWORD dst_unused:UNUSED_PAD src0_sel:DWORD src1_sel:WORD_1
	v_mul_f16_e32 v44, 0x39a8, v17
	v_fma_f16 v17, v23, 2.0, -v9
	v_lshrrev_b32_e32 v45, 16, v21
	v_fma_f16 v23, v32, s7, v22
	v_fma_f16 v22, v37, s0, v29
	v_fma_f16 v2, v19, 2.0, -v5
	v_fma_f16 v19, v45, s6, v21
	v_fma_f16 v22, v38, s1, v22
	v_lshrrev_b32_e32 v49, 16, v18
	s_movk_i32 s11, 0x3b64
	v_fma_f16 v30, v35, s7, v19
	v_mul_f16_e32 v48, 0x39a8, v38
	v_fma_f16 v38, v29, 2.0, -v22
	v_fma_f16 v29, v49, s11, v18
	v_fma_f16 v19, v21, 2.0, -v30
	v_sub_f16_e32 v21, v12, v25
	v_fma_f16 v29, v34, s6, v29
	v_lshl_add_u32 v50, v3, 5, 0
	v_mul_f16_e32 v43, 0x39a8, v20
	v_fma_f16 v20, v12, 2.0, -v21
	v_fma_f16 v24, v36, 2.0, -v23
	v_mul_f16_e32 v47, 0x39a8, v37
	v_fma_f16 v18, v18, 2.0, -v29
	v_lshl_add_u32 v42, v31, 1, v50
	v_pack_b32_f16 v36, v17, v19
	v_pack_b32_f16 v37, v2, v16
	ds_write2_b32 v42, v37, v36 offset1:1
	v_pack_b32_f16 v36, v38, v18
	v_pack_b32_f16 v37, v20, v24
	ds_write2_b32 v42, v37, v36 offset0:2 offset1:3
	v_pack_b32_f16 v36, v9, v30
	v_pack_b32_f16 v37, v5, v6
	ds_write2_b32 v42, v37, v36 offset0:4 offset1:5
	;; [unrolled: 3-line block ×3, first 2 shown]
	v_cmp_gt_u32_e64 s[0:1], 16, v3
	v_lshlrev_b32_e32 v36, 1, v31
	v_lshlrev_b32_e32 v37, 1, v3
	s_waitcnt lgkmcnt(0)
	s_barrier
	s_waitcnt lgkmcnt(0)
                                        ; implicit-def: $vgpr31
	s_and_saveexec_b64 s[2:3], s[0:1]
	s_cbranch_execz .LBB0_12
; %bb.11:
	v_mul_i32_i24_e32 v5, 0xffffffe2, v3
	v_add3_u32 v2, 0, v36, v37
	v_add3_u32 v31, v50, v5, v36
	ds_read_u16 v2, v2
	ds_read_u16 v16, v31 offset:32
	ds_read_u16 v17, v31 offset:64
	;; [unrolled: 1-line block ×16, first 2 shown]
.LBB0_12:
	s_or_b64 exec, exec, s[2:3]
	v_lshrrev_b32_e32 v4, 16, v4
	v_sub_f16_e32 v7, v4, v7
	v_fma_f16 v4, v4, 2.0, -v7
	v_add_f16_e32 v8, v7, v8
	v_fma_f16 v11, v11, 2.0, -v13
	v_fma_f16 v7, v7, 2.0, -v8
	v_sub_f16_e32 v11, v4, v11
	v_fma_f16 v13, v14, 2.0, -v26
	v_sub_f16_e32 v14, v7, v28
	v_add_f16_e32 v50, v11, v10
	v_fma_f16 v4, v4, 2.0, -v11
	v_add_f16_e32 v14, v33, v14
	v_fma_f16 v10, v11, 2.0, -v50
	;; [unrolled: 2-line block ×3, first 2 shown]
	v_fma_f16 v7, v15, 2.0, -v25
	v_add_f16_e32 v15, v40, v11
	v_sub_f16_e32 v13, v4, v13
	v_fma_f16 v11, v8, 2.0, -v15
	v_fma_f16 v8, v27, s7, v26
	v_fma_f16 v25, v41, s10, v8
	v_add_f16_sdwa v28, v13, v12 dst_sel:DWORD dst_unused:UNUSED_PAD src0_sel:DWORD src1_sel:WORD_1
	v_fma_f16 v12, v32, s10, v14
	v_fma_f16 v4, v4, 2.0, -v13
	v_fma_f16 v8, v26, 2.0, -v25
	v_sub_f16_e32 v26, v10, v44
	v_fma_f16 v27, v35, s6, v11
	v_fma_f16 v32, v46, s11, v12
	v_sub_f16_e32 v7, v4, v7
	v_add_f16_e32 v26, v43, v26
	v_fma_f16 v27, v45, s11, v27
	v_fma_f16 v12, v14, 2.0, -v32
	v_add_f16_e32 v14, v50, v48
	v_fma_f16 v34, v34, s11, v15
	v_fma_f16 v4, v4, 2.0, -v7
	v_fma_f16 v10, v10, 2.0, -v26
	v_fma_f16 v11, v11, 2.0, -v27
	v_add_f16_e32 v33, v47, v14
	v_fma_f16 v34, v49, s10, v34
	v_fma_f16 v13, v13, 2.0, -v28
	v_fma_f16 v14, v50, 2.0, -v33
	;; [unrolled: 1-line block ×3, first 2 shown]
	v_pack_b32_f16 v35, v10, v11
	v_pack_b32_f16 v39, v4, v8
	s_waitcnt lgkmcnt(0)
	s_barrier
	ds_write2_b32 v42, v39, v35 offset1:1
	v_pack_b32_f16 v35, v14, v15
	v_pack_b32_f16 v39, v13, v12
	ds_write2_b32 v42, v39, v35 offset0:2 offset1:3
	v_pack_b32_f16 v35, v26, v27
	v_pack_b32_f16 v39, v7, v25
	ds_write2_b32 v42, v39, v35 offset0:4 offset1:5
	;; [unrolled: 3-line block ×3, first 2 shown]
	s_waitcnt lgkmcnt(0)
	s_barrier
	s_waitcnt lgkmcnt(0)
                                        ; implicit-def: $vgpr35
	s_and_saveexec_b64 s[2:3], s[0:1]
	s_cbranch_execnz .LBB0_15
; %bb.13:
	s_or_b64 exec, exec, s[2:3]
	s_and_b64 s[0:1], vcc, s[0:1]
	s_and_saveexec_b64 s[2:3], s[0:1]
	s_cbranch_execnz .LBB0_16
.LBB0_14:
	s_endpgm
.LBB0_15:
	v_add3_u32 v4, 0, v36, v37
	v_add3_u32 v35, 0, v37, v36
	ds_read_u16 v4, v4
	ds_read_u16 v8, v35 offset:32
	ds_read_u16 v10, v35 offset:64
	;; [unrolled: 1-line block ×16, first 2 shown]
	s_or_b64 exec, exec, s[2:3]
	s_and_b64 s[0:1], vcc, s[0:1]
	s_and_saveexec_b64 s[2:3], s[0:1]
	s_cbranch_execz .LBB0_14
.LBB0_16:
	v_lshlrev_b32_e32 v36, 4, v3
	v_mov_b32_e32 v37, 0
	v_lshl_add_u64 v[36:37], v[36:37], 2, s[4:5]
	global_load_dwordx4 v[40:43], v[36:37], off
	global_load_dwordx4 v[44:47], v[36:37], off offset:48
	global_load_dwordx4 v[48:51], v[36:37], off offset:16
	;; [unrolled: 1-line block ×3, first 2 shown]
	s_movk_i32 s5, 0x3964
	s_movk_i32 s16, 0x3bf7
	s_movk_i32 s13, 0x3a62
	s_movk_i32 s12, 0x31e1
	s_mov_b32 s11, 0xb836
	s_mov_b32 s22, 0xbbb2
	;; [unrolled: 1-line block ×4, first 2 shown]
	s_movk_i32 s1, 0x39e9
	s_movk_i32 s0, 0x2de8
	s_mov_b32 s2, 0xb8d2
	s_mov_b32 s3, 0xbbdd
	;; [unrolled: 1-line block ×4, first 2 shown]
	s_movk_i32 s7, 0x3722
	s_movk_i32 s10, 0x3b76
	;; [unrolled: 1-line block ×3, first 2 shown]
	s_mov_b32 s18, 0xb1e1
	s_mov_b32 s20, 0xb964
	s_movk_i32 s19, 0x35c8
	s_movk_i32 s21, 0x3836
	s_mov_b32 s23, 0xba62
	s_movk_i32 s24, 0x3bb2
	s_mov_b32 s25, 0xbbf7
	s_waitcnt vmcnt(3)
	v_lshrrev_b32_e32 v36, 16, v40
	v_lshrrev_b32_e32 v37, 16, v41
	;; [unrolled: 1-line block ×3, first 2 shown]
	s_waitcnt lgkmcnt(14)
	v_mul_f16_e32 v57, v8, v40
	s_waitcnt vmcnt(2)
	v_lshrrev_b32_e32 v62, 16, v47
	s_waitcnt lgkmcnt(0)
	v_mul_f16_e32 v63, v35, v47
	s_waitcnt vmcnt(1)
	v_lshrrev_b32_e32 v70, 16, v48
	v_lshrrev_b32_e32 v79, 16, v51
	;; [unrolled: 1-line block ×3, first 2 shown]
	v_mul_f16_e32 v58, v10, v41
	v_mul_f16_e32 v59, v11, v42
	;; [unrolled: 1-line block ×3, first 2 shown]
	v_lshrrev_b32_e32 v61, 16, v46
	v_mul_f16_e32 v64, v34, v46
	v_mul_f16_e32 v71, v12, v48
	v_lshrrev_b32_e32 v72, 16, v49
	v_lshrrev_b32_e32 v75, 16, v50
	v_mul_f16_e32 v81, v7, v51
	s_waitcnt vmcnt(0)
	v_lshrrev_b32_e32 v82, 16, v52
	v_lshrrev_b32_e32 v80, 16, v53
	;; [unrolled: 1-line block ×3, first 2 shown]
	v_mul_f16_e32 v69, v8, v36
	v_mul_f16_e32 v86, v10, v37
	;; [unrolled: 1-line block ×6, first 2 shown]
	v_fma_f16 v7, v31, v62, v63
	v_fma_f16 v12, v16, v36, v57
	v_lshrrev_b32_e32 v67, 16, v44
	v_mul_f16_e32 v68, v32, v44
	v_mul_f16_e32 v74, v14, v49
	;; [unrolled: 1-line block ×3, first 2 shown]
	v_lshrrev_b32_e32 v73, 16, v55
	v_mul_f16_e32 v83, v27, v54
	v_mul_f16_e32 v84, v26, v53
	;; [unrolled: 1-line block ×7, first 2 shown]
	v_fma_f16 v8, v29, v61, v64
	v_fma_f16 v13, v17, v37, v58
	;; [unrolled: 1-line block ×4, first 2 shown]
	v_mul_f16_e32 v37, v27, v76
	v_mul_f16_e32 v39, v26, v80
	;; [unrolled: 1-line block ×3, first 2 shown]
	v_fma_f16 v25, v16, v40, -v69
	v_fma_f16 v26, v17, v41, -v86
	;; [unrolled: 1-line block ×4, first 2 shown]
	v_add_f16_e32 v17, v7, v12
	v_mul_f16_e32 v78, v28, v55
	v_fma_f16 v11, v23, v67, v68
	v_mul_f16_e32 v36, v28, v73
	v_fma_f16 v28, v20, v43, -v88
	v_fma_f16 v20, v29, v46, -v34
	v_add_f16_e32 v16, v8, v13
	v_mul_f16_e32 v68, 0x39e9, v17
	v_sub_f16_e32 v60, v25, v19
	v_lshrrev_b32_e32 v65, 16, v45
	v_mul_f16_e32 v66, v33, v45
	v_mul_f16_e32 v69, 0x2de8, v16
	v_sub_f16_e32 v59, v26, v20
	v_fma_f16 v29, v60, s5, v68
	v_mul_f16_e32 v33, v33, v65
	v_fma_f16 v10, v22, v65, v66
	v_add_f16_e32 v29, v4, v29
	v_fma_f16 v40, v59, s16, v69
	v_fma_f16 v22, v22, v45, -v33
	v_fma_f16 v31, v21, v55, -v36
	v_add_f16_e32 v41, v29, v40
	v_fma_f16 v29, v21, v73, v78
	v_add_f16_e32 v21, v10, v14
	v_mul_f16_e32 v32, v32, v67
	v_mul_f16_e32 v73, 0xb8d2, v21
	v_sub_f16_e32 v61, v27, v22
	v_fma_f16 v23, v23, v44, -v32
	v_fma_f16 v32, v24, v48, -v89
	v_fma_f16 v40, v24, v70, v71
	v_fma_f16 v24, v61, s13, v73
	v_add_f16_e32 v42, v41, v24
	v_add_f16_e32 v24, v11, v15
	v_fma_f16 v41, v30, v76, v83
	v_mul_f16_e32 v76, 0xbbdd, v24
	v_sub_f16_e32 v62, v28, v23
	v_fma_f16 v36, v30, v54, -v37
	v_fma_f16 v30, v62, s12, v76
	v_add_f16_e32 v42, v42, v30
	v_add_f16_e32 v30, v29, v40
	v_fma_f16 v46, v38, v72, v74
	v_mul_f16_e32 v78, 0xbacd, v30
	v_sub_f16_e32 v64, v32, v31
	v_fma_f16 v33, v38, v49, -v90
	v_fma_f16 v37, v9, v53, -v39
	v_fma_f16 v45, v9, v80, v84
	v_fma_f16 v9, v64, s11, v78
	v_add_f16_e32 v38, v41, v46
	v_fma_f16 v48, v18, v75, v77
	v_fma_f16 v34, v18, v50, -v91
	v_fma_f16 v39, v6, v52, -v56
	v_add_f16_e32 v9, v42, v9
	v_mul_f16_e32 v80, 0xb461, v38
	v_sub_f16_e32 v65, v33, v36
	v_fma_f16 v50, v6, v82, v85
	v_add_f16_e32 v42, v45, v48
	v_fma_f16 v52, v5, v79, v81
	v_fma_f16 v35, v5, v51, -v92
	v_fma_f16 v18, v65, s22, v80
	v_mul_f16_e32 v83, 0x3722, v42
	v_sub_f16_e32 v66, v34, v37
	v_add_f16_e32 v44, v50, v52
	v_add_f16_e32 v9, v9, v18
	v_fma_f16 v5, v66, s15, v83
	v_mul_f16_e32 v84, 0x3b76, v44
	v_sub_f16_e32 v67, v35, v39
	v_sub_f16_e32 v70, v12, v7
	v_add_f16_e32 v5, v9, v5
	v_fma_f16 v6, v67, s14, v84
	v_add_f16_e32 v47, v19, v25
	v_mul_f16_e32 v86, 0xb964, v70
	v_sub_f16_e32 v72, v13, v8
	v_add_f16_e32 v5, v5, v6
	v_fma_f16 v6, v47, s1, v86
	v_add_f16_e32 v49, v20, v26
	v_mul_f16_e32 v87, 0xbbf7, v72
	v_sub_f16_e32 v74, v14, v10
	v_add_f16_e32 v6, v2, v6
	v_fma_f16 v9, v49, s0, v87
	v_add_f16_e32 v51, v22, v27
	v_mul_f16_e32 v88, 0xba62, v74
	v_sub_f16_e32 v75, v15, v11
	v_add_f16_e32 v6, v6, v9
	v_fma_f16 v9, v51, s2, v88
	v_add_f16_e32 v53, v23, v28
	v_mul_f16_e32 v89, 0xb1e1, v75
	v_sub_f16_e32 v77, v40, v29
	v_add_f16_e32 v6, v6, v9
	v_fma_f16 v9, v53, s3, v89
	v_add_f16_e32 v55, v31, v32
	v_mul_f16_e32 v91, 0x3836, v77
	v_sub_f16_e32 v79, v46, v41
	v_add_f16_e32 v6, v6, v9
	v_fma_f16 v9, v55, s4, v91
	v_add_f16_e32 v56, v36, v33
	v_mul_f16_e32 v92, 0x3bb2, v79
	v_sub_f16_e32 v81, v48, v45
	v_add_f16_e32 v6, v6, v9
	v_fma_f16 v9, v56, s6, v92
	v_add_f16_e32 v57, v37, v34
	v_mul_f16_e32 v93, 0x3b29, v81
	v_sub_f16_e32 v82, v52, v50
	v_add_f16_e32 v6, v6, v9
	v_fma_f16 v9, v57, s7, v93
	v_add_f16_e32 v58, v39, v35
	v_mul_f16_e32 v94, 0x35c8, v82
	v_add_f16_e32 v6, v6, v9
	v_fma_f16 v9, v58, s10, v94
	v_mul_f16_e32 v95, 0x3722, v17
	v_add_f16_e32 v6, v6, v9
	v_fma_f16 v9, v60, s17, v95
	v_mul_f16_e32 v96, 0xb8d2, v16
	;; [unrolled: 3-line block ×58, first 2 shown]
	v_add_f16_e32 v90, v2, v90
	v_fma_f16 v153, v49, s6, v152
	v_add_f16_e32 v90, v90, v153
	v_mul_f16_e32 v153, 0xb5c8, v74
	v_fma_f16 v154, v51, s10, v153
	v_add_f16_e32 v90, v90, v154
	v_mul_f16_e32 v154, 0xb836, v75
	;; [unrolled: 3-line block ×7, first 2 shown]
	v_fma_f16 v160, v60, s21, v159
	v_mul_f16_e32 v161, 0x3722, v16
	v_add_f16_e32 v160, v4, v160
	v_fma_f16 v162, v59, s15, v161
	v_add_f16_e32 v160, v160, v162
	v_mul_f16_e32 v162, 0x2de8, v21
	v_fma_f16 v163, v61, s16, v162
	v_add_f16_e32 v160, v160, v163
	v_mul_f16_e32 v163, 0xb8d2, v24
	;; [unrolled: 3-line block ×7, first 2 shown]
	v_fma_f16 v169, v47, s4, v168
	v_mul_f16_e32 v170, 0x3b29, v72
	v_add_f16_e32 v169, v2, v169
	v_fma_f16 v171, v49, s7, v170
	v_add_f16_e32 v169, v169, v171
	v_mul_f16_e32 v171, 0xbbf7, v74
	v_fma_f16 v172, v51, s0, v171
	v_add_f16_e32 v169, v169, v172
	v_mul_f16_e32 v172, 0x3a62, v75
	;; [unrolled: 3-line block ×4, first 2 shown]
	v_fma_f16 v175, v56, s3, v174
	v_fma_f16 v68, v60, s20, v68
	v_add_f16_e32 v169, v169, v175
	v_mul_f16_e32 v175, 0x3964, v81
	v_add_f16_e32 v68, v4, v68
	v_fma_f16 v69, v59, s25, v69
	v_fma_f16 v176, v57, s1, v175
	v_add_f16_e32 v68, v68, v69
	v_fma_f16 v69, v61, s23, v73
	v_add_f16_e32 v169, v169, v176
	v_mul_f16_e32 v176, 0xbbb2, v82
	v_add_f16_e32 v68, v68, v69
	v_fma_f16 v69, v62, s18, v76
	v_fma_f16 v177, v58, s6, v176
	v_add_f16_e32 v68, v68, v69
	v_fma_f16 v69, v64, s21, v78
	v_add_f16_e32 v12, v4, v12
	v_add_f16_e32 v169, v169, v177
	v_mul_f16_e32 v177, 0xbbdd, v17
	v_add_f16_e32 v68, v68, v69
	v_fma_f16 v69, v65, s24, v80
	v_add_f16_e32 v12, v12, v13
	v_fma_f16 v178, v60, s12, v177
	v_mul_f16_e32 v179, 0x3b76, v16
	v_add_f16_e32 v68, v68, v69
	v_fma_f16 v69, v66, s17, v83
	v_add_f16_e32 v12, v12, v14
	v_add_f16_e32 v178, v4, v178
	v_fma_f16 v180, v59, s14, v179
	v_add_f16_e32 v68, v68, v69
	v_fma_f16 v69, v67, s19, v84
	v_add_f16_e32 v12, v12, v15
	v_add_f16_e32 v178, v178, v180
	v_mul_f16_e32 v180, 0xbacd, v21
	v_add_f16_e32 v68, v68, v69
	v_fma_f16 v69, v47, s1, -v86
	v_add_f16_e32 v12, v12, v40
	v_fma_f16 v181, v61, s21, v180
	v_add_f16_e32 v69, v2, v69
	v_fma_f16 v73, v49, s0, -v87
	v_add_f16_e32 v12, v12, v46
	v_add_f16_e32 v178, v178, v181
	v_mul_f16_e32 v181, 0x39e9, v24
	v_add_f16_e32 v69, v69, v73
	v_fma_f16 v73, v51, s2, -v88
	v_add_f16_e32 v12, v12, v48
	v_fma_f16 v182, v62, s20, v181
	v_add_f16_e32 v69, v69, v73
	v_fma_f16 v73, v53, s3, -v89
	;; [unrolled: 9-line block ×3, first 2 shown]
	v_add_f16_e32 v12, v45, v12
	v_add_f16_e32 v178, v178, v183
	v_mul_f16_e32 v183, 0x3722, v38
	v_add_f16_e32 v69, v69, v73
	v_fma_f16 v73, v57, s7, -v93
	v_add_f16_e32 v12, v41, v12
	v_fma_f16 v184, v65, s15, v183
	v_fma_f16 v177, v60, s18, v177
	;; [unrolled: 1-line block ×7, first 2 shown]
	v_add_f16_e32 v69, v69, v73
	v_fma_f16 v73, v58, s10, -v94
	v_mul_f16_e32 v60, 0xb5c8, v60
	v_add_f16_e32 v12, v29, v12
	v_add_f16_e32 v178, v178, v184
	v_mul_f16_e32 v184, 0xb461, v42
	v_add_f16_e32 v177, v4, v177
	v_fma_f16 v179, v59, s19, v179
	v_add_f16_e32 v159, v4, v159
	v_fma_f16 v161, v59, s17, v161
	;; [unrolled: 2-line block ×7, first 2 shown]
	v_mul_f16_e32 v59, 0xb964, v59
	v_add_f16_e32 v11, v11, v12
	v_fma_f16 v185, v66, s24, v184
	v_add_f16_e32 v177, v177, v179
	v_fma_f16 v179, v61, s11, v180
	;; [unrolled: 2-line block ×8, first 2 shown]
	v_mul_f16_e32 v61, 0xbb29, v61
	v_add_f16_e32 v10, v10, v11
	v_add_f16_e32 v178, v178, v185
	v_mul_f16_e32 v185, 0x2de8, v44
	v_add_f16_e32 v177, v177, v179
	v_fma_f16 v179, v62, s5, v181
	v_add_f16_e32 v159, v159, v161
	v_fma_f16 v161, v62, s13, v163
	;; [unrolled: 2-line block ×7, first 2 shown]
	v_mul_f16_e32 v62, 0xbbf7, v62
	v_add_f16_e32 v8, v8, v10
	v_fma_f16 v186, v67, s25, v185
	v_add_f16_e32 v177, v177, v179
	v_fma_f16 v179, v64, s23, v182
	;; [unrolled: 2-line block ×8, first 2 shown]
	v_mul_f16_e32 v64, 0xbbb2, v64
	v_add_f16_e32 v7, v7, v8
	v_fma_f16 v8, v17, s10, -v60
	v_add_f16_e32 v178, v178, v186
	v_mul_f16_e32 v186, 0xb1e1, v70
	v_add_f16_e32 v177, v177, v179
	v_fma_f16 v179, v65, s17, v183
	v_add_f16_e32 v159, v159, v161
	v_fma_f16 v161, v65, s18, v165
	;; [unrolled: 2-line block ×7, first 2 shown]
	v_mul_f16_e32 v65, 0xba62, v65
	v_add_f16_e32 v4, v4, v8
	v_fma_f16 v8, v16, s1, -v59
	v_fma_f16 v187, v47, s3, v186
	v_mul_f16_e32 v188, 0x35c8, v72
	v_add_f16_e32 v177, v177, v179
	v_fma_f16 v179, v66, s22, v184
	v_add_f16_e32 v159, v159, v161
	v_fma_f16 v161, v66, s5, v166
	;; [unrolled: 2-line block ×7, first 2 shown]
	v_mul_f16_e32 v66, 0xb836, v66
	v_add_f16_e32 v4, v4, v8
	v_fma_f16 v8, v21, s7, -v61
	v_add_f16_e32 v187, v2, v187
	v_fma_f16 v189, v49, s10, v188
	v_add_f16_e32 v177, v177, v179
	v_fma_f16 v179, v67, s16, v185
	;; [unrolled: 2-line block ×8, first 2 shown]
	v_mul_f16_e32 v67, 0xb1e1, v67
	v_add_f16_e32 v25, v2, v25
	v_add_f16_e32 v4, v4, v8
	v_fma_f16 v8, v24, s0, -v62
	v_add_f16_e32 v187, v187, v189
	v_mul_f16_e32 v189, 0xb836, v74
	v_add_f16_e32 v73, v73, v76
	v_fma_f16 v76, v44, s3, v67
	v_mul_f16_e32 v70, 0xb5c8, v70
	v_add_f16_e32 v25, v25, v26
	v_add_f16_e32 v4, v4, v8
	v_fma_f16 v8, v30, s6, -v64
	v_fma_f16 v190, v51, s4, v189
	v_add_f16_e32 v73, v73, v76
	v_fma_f16 v76, v47, s10, -v70
	v_mul_f16_e32 v72, 0xb964, v72
	v_add_f16_e32 v25, v25, v27
	v_add_f16_e32 v4, v4, v8
	v_fma_f16 v8, v38, s2, -v65
	v_add_f16_e32 v187, v187, v190
	v_mul_f16_e32 v190, 0x3964, v75
	v_add_f16_e32 v76, v2, v76
	v_fma_f16 v78, v49, s1, -v72
	v_mul_f16_e32 v74, 0xbb29, v74
	v_add_f16_e32 v25, v25, v28
	v_add_f16_e32 v4, v4, v8
	v_fma_f16 v8, v42, s4, -v66
	v_fma_f16 v191, v53, s1, v190
	v_add_f16_e32 v76, v76, v78
	v_fma_f16 v78, v51, s7, -v74
	v_mul_f16_e32 v75, 0xbbf7, v75
	v_add_f16_e32 v25, v25, v32
	v_add_f16_e32 v4, v4, v8
	v_fma_f16 v8, v44, s3, -v67
	v_add_f16_e32 v187, v187, v191
	v_mul_f16_e32 v191, 0xba62, v77
	v_add_f16_e32 v177, v177, v179
	v_fma_f16 v179, v47, s3, -v186
	v_add_f16_e32 v159, v159, v161
	v_fma_f16 v161, v47, s4, -v168
	;; [unrolled: 2-line block ×7, first 2 shown]
	v_mul_f16_e32 v77, 0xbbb2, v77
	v_add_f16_e32 v25, v25, v33
	v_add_f16_e32 v14, v4, v8
	v_fma_f16 v4, v47, s10, v70
	v_fma_f16 v192, v55, s2, v191
	v_add_f16_e32 v179, v2, v179
	v_fma_f16 v180, v49, s10, -v188
	v_add_f16_e32 v161, v2, v161
	v_add_f16_e32 v144, v2, v144
	;; [unrolled: 1-line block ×4, first 2 shown]
	v_fma_f16 v113, v49, s3, -v120
	v_add_f16_e32 v96, v2, v96
	v_add_f16_e32 v76, v76, v78
	v_fma_f16 v78, v55, s6, -v77
	v_add_f16_e32 v25, v25, v34
	v_add_f16_e32 v2, v2, v4
	v_fma_f16 v4, v49, s1, v72
	v_add_f16_e32 v187, v187, v192
	v_mul_f16_e32 v192, 0x3b29, v79
	v_add_f16_e32 v179, v179, v180
	v_fma_f16 v180, v51, s4, -v189
	v_fma_f16 v162, v49, s7, -v170
	v_add_f16_e32 v112, v112, v113
	v_fma_f16 v113, v51, s6, -v121
	v_fma_f16 v97, v49, s2, -v104
	v_add_f16_e32 v76, v76, v78
	v_mul_f16_e32 v78, 0xba62, v79
	v_add_f16_e32 v25, v25, v35
	v_add_f16_e32 v2, v2, v4
	v_fma_f16 v4, v51, s7, v74
	v_fma_f16 v193, v56, s7, v192
	v_add_f16_e32 v179, v179, v180
	v_fma_f16 v180, v53, s1, -v190
	v_add_f16_e32 v161, v161, v162
	v_fma_f16 v162, v51, s0, -v171
	v_fma_f16 v145, v49, s6, -v152
	v_fma_f16 v129, v49, s4, -v136
	v_add_f16_e32 v112, v112, v113
	v_fma_f16 v113, v53, s10, -v122
	v_add_f16_e32 v96, v96, v97
	v_fma_f16 v97, v51, s3, -v105
	v_fma_f16 v79, v56, s2, -v78
	v_add_f16_e32 v25, v39, v25
	v_add_f16_e32 v2, v2, v4
	v_fma_f16 v4, v53, s0, v75
	v_add_f16_e32 v187, v187, v193
	v_mul_f16_e32 v193, 0xbbb2, v81
	v_add_f16_e32 v179, v179, v180
	v_fma_f16 v180, v55, s2, -v191
	v_add_f16_e32 v161, v161, v162
	v_fma_f16 v162, v53, s2, -v172
	;; [unrolled: 2-line block ×6, first 2 shown]
	v_add_f16_e32 v76, v76, v79
	v_mul_f16_e32 v79, 0xb836, v81
	v_add_f16_e32 v25, v37, v25
	v_add_f16_e32 v2, v2, v4
	v_fma_f16 v4, v55, s6, v77
	v_fma_f16 v194, v57, s6, v193
	v_add_f16_e32 v179, v179, v180
	v_fma_f16 v180, v56, s7, -v192
	v_add_f16_e32 v161, v161, v162
	v_fma_f16 v162, v55, s10, -v173
	;; [unrolled: 2-line block ×6, first 2 shown]
	v_fma_f16 v80, v57, s4, -v79
	v_add_f16_e32 v25, v36, v25
	v_add_f16_e32 v2, v2, v4
	v_fma_f16 v4, v56, s2, v78
	v_add_f16_e32 v187, v187, v194
	v_mul_f16_e32 v194, 0x3bf7, v82
	v_add_f16_e32 v179, v179, v180
	v_fma_f16 v180, v57, s6, -v193
	v_add_f16_e32 v161, v161, v162
	v_fma_f16 v162, v56, s3, -v174
	;; [unrolled: 2-line block ×6, first 2 shown]
	v_add_f16_e32 v76, v76, v80
	v_mul_f16_e32 v80, 0xb1e1, v82
	v_add_f16_e32 v25, v31, v25
	v_add_f16_e32 v2, v2, v4
	v_fma_f16 v4, v57, s4, v79
	v_fma_f16 v195, v58, s0, v194
	v_add_f16_e32 v179, v179, v180
	v_fma_f16 v180, v58, s0, -v194
	v_add_f16_e32 v161, v161, v162
	v_fma_f16 v162, v57, s1, -v175
	;; [unrolled: 2-line block ×6, first 2 shown]
	v_add_f16_e32 v23, v23, v25
	v_add_f16_e32 v2, v2, v4
	v_fma_f16 v4, v58, s3, v80
	v_mad_u64_u32 v[10:11], s[0:1], s8, v3, 0
	v_add_f16_e32 v22, v22, v23
	v_add_f16_e32 v15, v2, v4
	v_mov_b32_e32 v2, v11
	v_add_f16_e32 v20, v20, v22
	v_mad_u64_u32 v[12:13], s[0:1], s9, v3, v[2:3]
	v_add_f16_e32 v19, v19, v20
	v_mov_b32_e32 v11, v12
	v_lshl_add_u64 v[10:11], v[10:11], 2, v[0:1]
	v_pack_b32_f16 v2, v19, v7
	v_or_b32_e32 v4, 16, v3
	global_store_dword v[10:11], v2, off
	v_mad_u64_u32 v[10:11], s[0:1], s8, v4, 0
	v_mov_b32_e32 v2, v11
	v_fma_f16 v81, v58, s3, -v80
	v_mad_u64_u32 v[12:13], s[0:1], s9, v4, v[2:3]
	v_add_f16_e32 v76, v76, v81
	v_mov_b32_e32 v11, v12
	v_lshl_add_u64 v[10:11], v[10:11], 2, v[0:1]
	v_pack_b32_f16 v2, v76, v73
	v_or_b32_e32 v4, 32, v3
	global_store_dword v[10:11], v2, off
	v_mad_u64_u32 v[10:11], s[0:1], s8, v4, 0
	v_mov_b32_e32 v2, v11
	v_mad_u64_u32 v[12:13], s[0:1], s9, v4, v[2:3]
	v_mov_b32_e32 v11, v12
	v_lshl_add_u64 v[10:11], v[10:11], 2, v[0:1]
	v_pack_b32_f16 v2, v69, v68
	v_or_b32_e32 v4, 48, v3
	global_store_dword v[10:11], v2, off
	v_mad_u64_u32 v[10:11], s[0:1], s8, v4, 0
	v_mov_b32_e32 v2, v11
	v_add_f16_e32 v96, v96, v97
	v_fma_f16 v97, v58, s4, -v110
	v_mad_u64_u32 v[12:13], s[0:1], s9, v4, v[2:3]
	v_add_f16_e32 v96, v96, v97
	v_mov_b32_e32 v11, v12
	v_lshl_add_u64 v[10:11], v[10:11], 2, v[0:1]
	v_pack_b32_f16 v2, v96, v95
	v_or_b32_e32 v4, 64, v3
	global_store_dword v[10:11], v2, off
	v_mad_u64_u32 v[10:11], s[0:1], s8, v4, 0
	v_mov_b32_e32 v2, v11
	v_mad_u64_u32 v[12:13], s[0:1], s9, v4, v[2:3]
	v_add_f16_e32 v112, v112, v113
	v_mov_b32_e32 v11, v12
	v_lshl_add_u64 v[10:11], v[10:11], 2, v[0:1]
	v_pack_b32_f16 v2, v112, v111
	v_or_b32_e32 v4, 0x50, v3
	global_store_dword v[10:11], v2, off
	v_mad_u64_u32 v[10:11], s[0:1], s8, v4, 0
	v_add_f16_e32 v128, v128, v129
	v_fma_f16 v129, v57, s10, -v141
	v_mov_b32_e32 v2, v11
	v_add_f16_e32 v128, v128, v129
	v_fma_f16 v129, v58, s2, -v142
	v_mad_u64_u32 v[12:13], s[0:1], s9, v4, v[2:3]
	v_add_f16_e32 v128, v128, v129
	v_mov_b32_e32 v11, v12
	v_lshl_add_u64 v[10:11], v[10:11], 2, v[0:1]
	v_pack_b32_f16 v2, v128, v127
	v_or_b32_e32 v4, 0x60, v3
	global_store_dword v[10:11], v2, off
	v_mad_u64_u32 v[10:11], s[0:1], s8, v4, 0
	v_add_f16_e32 v144, v144, v145
	v_fma_f16 v145, v57, s3, -v157
	v_mov_b32_e32 v2, v11
	v_add_f16_e32 v144, v144, v145
	v_fma_f16 v145, v58, s7, -v158
	v_mad_u64_u32 v[12:13], s[0:1], s9, v4, v[2:3]
	v_add_f16_e32 v144, v144, v145
	v_mov_b32_e32 v11, v12
	v_lshl_add_u64 v[10:11], v[10:11], 2, v[0:1]
	v_pack_b32_f16 v2, v144, v143
	v_or_b32_e32 v4, 0x70, v3
	global_store_dword v[10:11], v2, off
	v_mad_u64_u32 v[10:11], s[0:1], s8, v4, 0
	v_mov_b32_e32 v2, v11
	v_add_f16_e32 v161, v161, v162
	v_fma_f16 v162, v58, s6, -v176
	v_mad_u64_u32 v[12:13], s[0:1], s9, v4, v[2:3]
	v_add_f16_e32 v161, v161, v162
	v_mov_b32_e32 v11, v12
	v_lshl_add_u64 v[10:11], v[10:11], 2, v[0:1]
	v_pack_b32_f16 v2, v161, v159
	v_or_b32_e32 v4, 0x80, v3
	global_store_dword v[10:11], v2, off
	v_mad_u64_u32 v[10:11], s[0:1], s8, v4, 0
	v_mov_b32_e32 v2, v11
	v_mad_u64_u32 v[12:13], s[0:1], s9, v4, v[2:3]
	v_add_f16_e32 v179, v179, v180
	v_mov_b32_e32 v11, v12
	v_lshl_add_u64 v[10:11], v[10:11], 2, v[0:1]
	v_pack_b32_f16 v2, v179, v177
	v_or_b32_e32 v4, 0x90, v3
	global_store_dword v[10:11], v2, off
	v_mad_u64_u32 v[10:11], s[0:1], s8, v4, 0
	v_mov_b32_e32 v2, v11
	;; [unrolled: 9-line block ×3, first 2 shown]
	v_mad_u64_u32 v[12:13], s[0:1], s9, v4, v[2:3]
	v_mov_b32_e32 v11, v12
	v_lshl_add_u64 v[10:11], v[10:11], 2, v[0:1]
	v_pack_b32_f16 v2, v169, v160
	v_or_b32_e32 v4, 0xb0, v3
	global_store_dword v[10:11], v2, off
	v_mad_u64_u32 v[10:11], s[0:1], s8, v4, 0
	v_mov_b32_e32 v2, v11
	v_mad_u64_u32 v[12:13], s[0:1], s9, v4, v[2:3]
	v_mov_b32_e32 v11, v12
	v_lshl_add_u64 v[10:11], v[10:11], 2, v[0:1]
	v_pack_b32_f16 v2, v90, v85
	v_or_b32_e32 v4, 0xc0, v3
	global_store_dword v[10:11], v2, off
	v_mad_u64_u32 v[10:11], s[0:1], s8, v4, 0
	v_mov_b32_e32 v2, v11
	v_mad_u64_u32 v[12:13], s[0:1], s9, v4, v[2:3]
	v_mov_b32_e32 v11, v12
	v_lshl_add_u64 v[10:11], v[10:11], 2, v[0:1]
	v_pack_b32_f16 v2, v71, v63
	v_or_b32_e32 v4, 0xd0, v3
	global_store_dword v[10:11], v2, off
	v_mad_u64_u32 v[10:11], s[0:1], s8, v4, 0
	v_mov_b32_e32 v2, v11
	v_mad_u64_u32 v[12:13], s[0:1], s9, v4, v[2:3]
	v_mov_b32_e32 v11, v12
	v_lshl_add_u64 v[10:11], v[10:11], 2, v[0:1]
	v_pack_b32_f16 v2, v54, v43
	v_or_b32_e32 v4, 0xe0, v3
	global_store_dword v[10:11], v2, off
	v_mad_u64_u32 v[10:11], s[0:1], s8, v4, 0
	v_mov_b32_e32 v2, v11
	v_mad_u64_u32 v[12:13], s[0:1], s9, v4, v[2:3]
	v_mov_b32_e32 v11, v12
	v_or_b32_e32 v4, 0xf0, v3
	v_lshl_add_u64 v[10:11], v[10:11], 2, v[0:1]
	v_pack_b32_f16 v2, v18, v9
	v_mad_u64_u32 v[8:9], s[0:1], s8, v4, 0
	global_store_dword v[10:11], v2, off
	v_mov_b32_e32 v2, v9
	v_mad_u64_u32 v[10:11], s[0:1], s9, v4, v[2:3]
	v_mov_b32_e32 v9, v10
	v_lshl_add_u64 v[8:9], v[8:9], 2, v[0:1]
	v_pack_b32_f16 v2, v6, v5
	v_or_b32_e32 v5, 0x100, v3
	global_store_dword v[8:9], v2, off
	v_mad_u64_u32 v[2:3], s[0:1], s8, v5, 0
	v_mov_b32_e32 v4, v3
	v_mad_u64_u32 v[4:5], s[0:1], s9, v5, v[4:5]
	v_mov_b32_e32 v3, v4
	v_lshl_add_u64 v[0:1], v[2:3], 2, v[0:1]
	v_pack_b32_f16 v2, v15, v14
	global_store_dword v[0:1], v2, off
	s_endpgm
	.section	.rodata,"a",@progbits
	.p2align	6, 0x0
	.amdhsa_kernel fft_rtc_fwd_len272_factors_16_17_wgs_119_tpt_17_halfLds_half_ip_CI_sbrr_dirReg
		.amdhsa_group_segment_fixed_size 0
		.amdhsa_private_segment_fixed_size 0
		.amdhsa_kernarg_size 88
		.amdhsa_user_sgpr_count 2
		.amdhsa_user_sgpr_dispatch_ptr 0
		.amdhsa_user_sgpr_queue_ptr 0
		.amdhsa_user_sgpr_kernarg_segment_ptr 1
		.amdhsa_user_sgpr_dispatch_id 0
		.amdhsa_user_sgpr_kernarg_preload_length 0
		.amdhsa_user_sgpr_kernarg_preload_offset 0
		.amdhsa_user_sgpr_private_segment_size 0
		.amdhsa_uses_dynamic_stack 0
		.amdhsa_enable_private_segment 0
		.amdhsa_system_sgpr_workgroup_id_x 1
		.amdhsa_system_sgpr_workgroup_id_y 0
		.amdhsa_system_sgpr_workgroup_id_z 0
		.amdhsa_system_sgpr_workgroup_info 0
		.amdhsa_system_vgpr_workitem_id 0
		.amdhsa_next_free_vgpr 196
		.amdhsa_next_free_sgpr 26
		.amdhsa_accum_offset 196
		.amdhsa_reserve_vcc 1
		.amdhsa_float_round_mode_32 0
		.amdhsa_float_round_mode_16_64 0
		.amdhsa_float_denorm_mode_32 3
		.amdhsa_float_denorm_mode_16_64 3
		.amdhsa_dx10_clamp 1
		.amdhsa_ieee_mode 1
		.amdhsa_fp16_overflow 0
		.amdhsa_tg_split 0
		.amdhsa_exception_fp_ieee_invalid_op 0
		.amdhsa_exception_fp_denorm_src 0
		.amdhsa_exception_fp_ieee_div_zero 0
		.amdhsa_exception_fp_ieee_overflow 0
		.amdhsa_exception_fp_ieee_underflow 0
		.amdhsa_exception_fp_ieee_inexact 0
		.amdhsa_exception_int_div_zero 0
	.end_amdhsa_kernel
	.text
.Lfunc_end0:
	.size	fft_rtc_fwd_len272_factors_16_17_wgs_119_tpt_17_halfLds_half_ip_CI_sbrr_dirReg, .Lfunc_end0-fft_rtc_fwd_len272_factors_16_17_wgs_119_tpt_17_halfLds_half_ip_CI_sbrr_dirReg
                                        ; -- End function
	.section	.AMDGPU.csdata,"",@progbits
; Kernel info:
; codeLenInByte = 9836
; NumSgprs: 32
; NumVgprs: 196
; NumAgprs: 0
; TotalNumVgprs: 196
; ScratchSize: 0
; MemoryBound: 0
; FloatMode: 240
; IeeeMode: 1
; LDSByteSize: 0 bytes/workgroup (compile time only)
; SGPRBlocks: 3
; VGPRBlocks: 24
; NumSGPRsForWavesPerEU: 32
; NumVGPRsForWavesPerEU: 196
; AccumOffset: 196
; Occupancy: 2
; WaveLimiterHint : 1
; COMPUTE_PGM_RSRC2:SCRATCH_EN: 0
; COMPUTE_PGM_RSRC2:USER_SGPR: 2
; COMPUTE_PGM_RSRC2:TRAP_HANDLER: 0
; COMPUTE_PGM_RSRC2:TGID_X_EN: 1
; COMPUTE_PGM_RSRC2:TGID_Y_EN: 0
; COMPUTE_PGM_RSRC2:TGID_Z_EN: 0
; COMPUTE_PGM_RSRC2:TIDIG_COMP_CNT: 0
; COMPUTE_PGM_RSRC3_GFX90A:ACCUM_OFFSET: 48
; COMPUTE_PGM_RSRC3_GFX90A:TG_SPLIT: 0
	.text
	.p2alignl 6, 3212836864
	.fill 256, 4, 3212836864
	.type	__hip_cuid_bff783b9a287258d,@object ; @__hip_cuid_bff783b9a287258d
	.section	.bss,"aw",@nobits
	.globl	__hip_cuid_bff783b9a287258d
__hip_cuid_bff783b9a287258d:
	.byte	0                               ; 0x0
	.size	__hip_cuid_bff783b9a287258d, 1

	.ident	"AMD clang version 19.0.0git (https://github.com/RadeonOpenCompute/llvm-project roc-6.4.0 25133 c7fe45cf4b819c5991fe208aaa96edf142730f1d)"
	.section	".note.GNU-stack","",@progbits
	.addrsig
	.addrsig_sym __hip_cuid_bff783b9a287258d
	.amdgpu_metadata
---
amdhsa.kernels:
  - .agpr_count:     0
    .args:
      - .actual_access:  read_only
        .address_space:  global
        .offset:         0
        .size:           8
        .value_kind:     global_buffer
      - .offset:         8
        .size:           8
        .value_kind:     by_value
      - .actual_access:  read_only
        .address_space:  global
        .offset:         16
        .size:           8
        .value_kind:     global_buffer
      - .actual_access:  read_only
        .address_space:  global
        .offset:         24
        .size:           8
        .value_kind:     global_buffer
      - .offset:         32
        .size:           8
        .value_kind:     by_value
      - .actual_access:  read_only
        .address_space:  global
        .offset:         40
        .size:           8
        .value_kind:     global_buffer
      - .actual_access:  read_only
        .address_space:  global
        .offset:         48
        .size:           8
        .value_kind:     global_buffer
      - .offset:         56
        .size:           4
        .value_kind:     by_value
      - .actual_access:  read_only
        .address_space:  global
        .offset:         64
        .size:           8
        .value_kind:     global_buffer
      - .actual_access:  read_only
        .address_space:  global
        .offset:         72
        .size:           8
        .value_kind:     global_buffer
      - .address_space:  global
        .offset:         80
        .size:           8
        .value_kind:     global_buffer
    .group_segment_fixed_size: 0
    .kernarg_segment_align: 8
    .kernarg_segment_size: 88
    .language:       OpenCL C
    .language_version:
      - 2
      - 0
    .max_flat_workgroup_size: 119
    .name:           fft_rtc_fwd_len272_factors_16_17_wgs_119_tpt_17_halfLds_half_ip_CI_sbrr_dirReg
    .private_segment_fixed_size: 0
    .sgpr_count:     32
    .sgpr_spill_count: 0
    .symbol:         fft_rtc_fwd_len272_factors_16_17_wgs_119_tpt_17_halfLds_half_ip_CI_sbrr_dirReg.kd
    .uniform_work_group_size: 1
    .uses_dynamic_stack: false
    .vgpr_count:     196
    .vgpr_spill_count: 0
    .wavefront_size: 64
amdhsa.target:   amdgcn-amd-amdhsa--gfx950
amdhsa.version:
  - 1
  - 2
...

	.end_amdgpu_metadata
